;; amdgpu-corpus repo=ROCm/rocFFT kind=compiled arch=gfx1201 opt=O3
	.text
	.amdgcn_target "amdgcn-amd-amdhsa--gfx1201"
	.amdhsa_code_object_version 6
	.protected	fft_rtc_back_len100_factors_5_4_5_wgs_250_tpt_25_halfLds_dim1_dp_op_CI_CI_unitstride_sbrr_R2C_dirReg ; -- Begin function fft_rtc_back_len100_factors_5_4_5_wgs_250_tpt_25_halfLds_dim1_dp_op_CI_CI_unitstride_sbrr_R2C_dirReg
	.globl	fft_rtc_back_len100_factors_5_4_5_wgs_250_tpt_25_halfLds_dim1_dp_op_CI_CI_unitstride_sbrr_R2C_dirReg
	.p2align	8
	.type	fft_rtc_back_len100_factors_5_4_5_wgs_250_tpt_25_halfLds_dim1_dp_op_CI_CI_unitstride_sbrr_R2C_dirReg,@function
fft_rtc_back_len100_factors_5_4_5_wgs_250_tpt_25_halfLds_dim1_dp_op_CI_CI_unitstride_sbrr_R2C_dirReg: ; @fft_rtc_back_len100_factors_5_4_5_wgs_250_tpt_25_halfLds_dim1_dp_op_CI_CI_unitstride_sbrr_R2C_dirReg
; %bb.0:
	v_mul_u32_u24_e32 v1, 0xa3e, v0
	s_load_b64 s[2:3], s[0:1], 0x20
                                        ; implicit-def: $vgpr25
                                        ; implicit-def: $vgpr24
	s_delay_alu instid0(VALU_DEP_1) | instskip(NEXT) | instid1(VALU_DEP_1)
	v_lshrrev_b32_e32 v1, 16, v1
	v_mad_co_u64_u32 v[26:27], null, ttmp9, 10, v[1:2]
	v_mov_b32_e32 v27, 0
	s_delay_alu instid0(VALU_DEP_2) | instskip(SKIP_1) | instid1(VALU_DEP_2)
	v_mul_hi_u32 v2, 0xcccccccd, v26
	s_wait_kmcnt 0x0
	v_cmp_gt_u64_e32 vcc_lo, s[2:3], v[26:27]
	v_cmp_le_u64_e64 s2, s[2:3], v[26:27]
	s_delay_alu instid0(VALU_DEP_3) | instskip(NEXT) | instid1(VALU_DEP_1)
	v_lshrrev_b32_e32 v2, 3, v2
	v_mul_lo_u32 v2, v2, 10
	s_delay_alu instid0(VALU_DEP_1) | instskip(NEXT) | instid1(VALU_DEP_4)
	v_sub_nc_u32_e32 v2, v26, v2
	s_and_saveexec_b32 s3, s2
	s_wait_alu 0xfffe
	s_xor_b32 s2, exec_lo, s3
; %bb.1:
	v_and_b32_e32 v1, 0xffff, v0
	s_delay_alu instid0(VALU_DEP_1) | instskip(NEXT) | instid1(VALU_DEP_1)
	v_mul_u32_u24_e32 v1, 0xa3e, v1
	v_lshrrev_b32_e32 v1, 16, v1
	s_delay_alu instid0(VALU_DEP_1) | instskip(NEXT) | instid1(VALU_DEP_1)
	v_mul_lo_u16 v1, v1, 25
	v_sub_nc_u16 v25, v0, v1
                                        ; implicit-def: $vgpr1
                                        ; implicit-def: $vgpr0
	s_delay_alu instid0(VALU_DEP_1)
	v_and_b32_e32 v24, 0xffff, v25
; %bb.2:
	s_wait_alu 0xfffe
	s_or_saveexec_b32 s3, s2
	s_load_b64 s[4:5], s[0:1], 0x0
	v_mul_u32_u24_e32 v2, 0x65, v2
                                        ; implicit-def: $vgpr27
	s_delay_alu instid0(VALU_DEP_1)
	v_lshlrev_b32_e32 v48, 4, v2
	s_xor_b32 exec_lo, exec_lo, s3
	s_cbranch_execz .LBB0_4
; %bb.3:
	s_clause 0x1
	s_load_b64 s[6:7], s[0:1], 0x10
	s_load_b64 s[8:9], s[0:1], 0x50
	v_mul_lo_u16 v1, v1, 25
	s_delay_alu instid0(VALU_DEP_1) | instskip(NEXT) | instid1(VALU_DEP_1)
	v_sub_nc_u16 v25, v0, v1
	v_and_b32_e32 v24, 0xffff, v25
	s_delay_alu instid0(VALU_DEP_1) | instskip(SKIP_4) | instid1(VALU_DEP_1)
	v_dual_mov_b32 v27, v24 :: v_dual_lshlrev_b32 v16, 4, v24
	s_wait_kmcnt 0x0
	s_load_b64 s[6:7], s[6:7], 0x8
	s_wait_kmcnt 0x0
	v_mad_co_u64_u32 v[2:3], null, s6, v26, 0
	v_mad_co_u64_u32 v[3:4], null, s7, v26, v[3:4]
	s_delay_alu instid0(VALU_DEP_1) | instskip(NEXT) | instid1(VALU_DEP_1)
	v_lshlrev_b64_e32 v[0:1], 4, v[2:3]
	v_add_co_u32 v0, s2, s8, v0
	s_wait_alu 0xf1ff
	s_delay_alu instid0(VALU_DEP_2) | instskip(NEXT) | instid1(VALU_DEP_2)
	v_add_co_ci_u32_e64 v1, s2, s9, v1, s2
	v_add_co_u32 v12, s2, v0, v16
	s_wait_alu 0xf1ff
	s_delay_alu instid0(VALU_DEP_2)
	v_add_co_ci_u32_e64 v13, s2, 0, v1, s2
	v_add3_u32 v16, 0, v48, v16
	s_clause 0x3
	global_load_b128 v[0:3], v[12:13], off
	global_load_b128 v[4:7], v[12:13], off offset:400
	global_load_b128 v[8:11], v[12:13], off offset:800
	;; [unrolled: 1-line block ×3, first 2 shown]
	s_wait_loadcnt 0x3
	ds_store_b128 v16, v[0:3]
	s_wait_loadcnt 0x2
	ds_store_b128 v16, v[4:7] offset:400
	s_wait_loadcnt 0x1
	ds_store_b128 v16, v[8:11] offset:800
	;; [unrolled: 2-line block ×3, first 2 shown]
.LBB0_4:
	s_or_b32 exec_lo, exec_lo, s3
	v_lshlrev_b32_e32 v46, 4, v24
	global_wb scope:SCOPE_SE
	s_wait_dscnt 0x0
	s_wait_kmcnt 0x0
	s_barrier_signal -1
	s_barrier_wait -1
	global_inv scope:SCOPE_SE
	v_add_nc_u32_e32 v49, 0, v46
	v_add_nc_u32_e32 v44, 0, v48
	s_mov_b32 s8, 0x134454ff
	s_mov_b32 s9, 0x3fee6f0e
	s_mov_b32 s15, 0xbfee6f0e
	v_add_nc_u32_e32 v47, v49, v48
	v_add_nc_u32_e32 v45, v44, v46
	s_wait_alu 0xfffe
	s_mov_b32 s14, s8
	s_mov_b32 s10, 0x4755a5e
	;; [unrolled: 1-line block ×3, first 2 shown]
	ds_load_b128 v[8:11], v47 offset:640
	ds_load_b128 v[4:7], v47 offset:960
	;; [unrolled: 1-line block ×4, first 2 shown]
	ds_load_b128 v[20:23], v45
	s_mov_b32 s17, 0xbfe2cf23
	s_mov_b32 s16, s10
	;; [unrolled: 1-line block ×4, first 2 shown]
	s_load_b64 s[6:7], s[0:1], 0x18
	v_cmp_gt_u16_e64 s2, 20, v25
	global_wb scope:SCOPE_SE
	s_wait_dscnt 0x0
	s_wait_kmcnt 0x0
	s_barrier_signal -1
	s_barrier_wait -1
	global_inv scope:SCOPE_SE
	v_add_f64_e64 v[42:43], v[18:19], -v[10:11]
	v_add_f64_e32 v[0:1], v[8:9], v[4:5]
	v_add_f64_e32 v[2:3], v[10:11], v[6:7]
	v_add_f64_e64 v[28:29], v[18:19], -v[14:15]
	v_add_f64_e64 v[30:31], v[16:17], -v[12:13]
	;; [unrolled: 1-line block ×5, first 2 shown]
	v_fma_f64 v[32:33], v[0:1], -0.5, v[20:21]
	v_fma_f64 v[34:35], v[2:3], -0.5, v[22:23]
	v_add_f64_e64 v[0:1], v[16:17], -v[8:9]
	v_add_f64_e64 v[2:3], v[12:13], -v[4:5]
	v_add_f64_e32 v[42:43], v[42:43], v[50:51]
	v_fma_f64 v[52:53], v[28:29], s[8:9], v[32:33]
	v_fma_f64 v[54:55], v[30:31], s[14:15], v[34:35]
	s_delay_alu instid0(VALU_DEP_4) | instskip(NEXT) | instid1(VALU_DEP_3)
	v_add_f64_e32 v[40:41], v[0:1], v[2:3]
	v_fma_f64 v[0:1], v[36:37], s[10:11], v[52:53]
	s_delay_alu instid0(VALU_DEP_3) | instskip(NEXT) | instid1(VALU_DEP_2)
	v_fma_f64 v[2:3], v[38:39], s[16:17], v[54:55]
	v_fma_f64 v[0:1], v[40:41], s[12:13], v[0:1]
	s_delay_alu instid0(VALU_DEP_2)
	v_fma_f64 v[2:3], v[42:43], s[12:13], v[2:3]
	s_and_saveexec_b32 s3, s2
	s_cbranch_execz .LBB0_6
; %bb.5:
	v_add_f64_e32 v[50:51], v[18:19], v[14:15]
	v_add_f64_e32 v[52:53], v[16:17], v[12:13]
	v_add_f64_e32 v[56:57], v[22:23], v[18:19]
	v_add_f64_e32 v[60:61], v[20:21], v[16:17]
	v_mul_f64_e32 v[54:55], s[8:9], v[30:31]
	v_mul_f64_e32 v[58:59], s[8:9], v[28:29]
	v_add_f64_e64 v[18:19], v[10:11], -v[18:19]
	v_add_f64_e64 v[16:17], v[8:9], -v[16:17]
	v_add_f64_e64 v[64:65], v[4:5], -v[12:13]
	v_add_f64_e64 v[62:63], v[6:7], -v[14:15]
	v_fma_f64 v[22:23], v[50:51], -0.5, v[22:23]
	v_fma_f64 v[20:21], v[52:53], -0.5, v[20:21]
	v_add_f64_e32 v[10:11], v[56:57], v[10:11]
	v_add_f64_e32 v[8:9], v[60:61], v[8:9]
	v_mul_f64_e32 v[50:51], s[10:11], v[36:37]
	v_mul_f64_e32 v[52:53], s[10:11], v[38:39]
	v_add_f64_e32 v[34:35], v[54:55], v[34:35]
	v_add_f64_e64 v[32:33], v[32:33], -v[58:59]
	v_add_f64_e32 v[18:19], v[18:19], v[62:63]
	v_fma_f64 v[54:55], v[38:39], s[8:9], v[22:23]
	v_fma_f64 v[22:23], v[38:39], s[14:15], v[22:23]
	;; [unrolled: 1-line block ×4, first 2 shown]
	v_add_f64_e32 v[10:11], v[10:11], v[6:7]
	v_add_f64_e32 v[8:9], v[8:9], v[4:5]
	v_mul_f64_e32 v[36:37], s[12:13], v[40:41]
	v_mul_f64_e32 v[40:41], s[12:13], v[42:43]
	v_add_f64_e32 v[42:43], v[16:17], v[64:65]
	v_add_f64_e32 v[16:17], v[52:53], v[34:35]
	v_add_f64_e64 v[32:33], v[32:33], -v[50:51]
	v_fma_f64 v[34:35], v[30:31], s[16:17], v[54:55]
	v_fma_f64 v[22:23], v[30:31], s[10:11], v[22:23]
	;; [unrolled: 1-line block ×4, first 2 shown]
	v_add_f64_e32 v[10:11], v[10:11], v[14:15]
	v_add_f64_e32 v[8:9], v[8:9], v[12:13]
	;; [unrolled: 1-line block ×4, first 2 shown]
	v_fma_f64 v[14:15], v[18:19], s[12:13], v[34:35]
	v_fma_f64 v[18:19], v[18:19], s[12:13], v[22:23]
	;; [unrolled: 1-line block ×4, first 2 shown]
	v_lshlrev_b32_e32 v20, 6, v24
	s_delay_alu instid0(VALU_DEP_1)
	v_add3_u32 v20, v49, v20, v48
	ds_store_b128 v20, v[8:11]
	ds_store_b128 v20, v[4:7] offset:16
	ds_store_b128 v20, v[16:19] offset:32
	;; [unrolled: 1-line block ×4, first 2 shown]
.LBB0_6:
	s_wait_alu 0xfffe
	s_or_b32 exec_lo, exec_lo, s3
	v_and_b32_e32 v4, 0xff, v25
	s_load_b64 s[6:7], s[6:7], 0x8
	global_wb scope:SCOPE_SE
	s_wait_dscnt 0x0
	s_wait_kmcnt 0x0
	s_barrier_signal -1
	s_barrier_wait -1
	v_mul_lo_u16 v4, 0xcd, v4
	global_inv scope:SCOPE_SE
	v_lshrrev_b16 v38, 10, v4
	s_delay_alu instid0(VALU_DEP_1) | instskip(NEXT) | instid1(VALU_DEP_1)
	v_mul_lo_u16 v4, v38, 5
	v_sub_nc_u16 v4, v25, v4
	s_delay_alu instid0(VALU_DEP_1) | instskip(NEXT) | instid1(VALU_DEP_1)
	v_and_b32_e32 v39, 0xff, v4
	v_mul_u32_u24_e32 v4, 3, v39
	s_delay_alu instid0(VALU_DEP_1)
	v_lshlrev_b32_e32 v12, 4, v4
	s_clause 0x2
	global_load_b128 v[4:7], v12, s[4:5]
	global_load_b128 v[8:11], v12, s[4:5] offset:16
	global_load_b128 v[12:15], v12, s[4:5] offset:32
	ds_load_b128 v[16:19], v47 offset:400
	ds_load_b128 v[20:23], v47 offset:800
	;; [unrolled: 1-line block ×3, first 2 shown]
	s_wait_loadcnt_dscnt 0x202
	v_mul_f64_e32 v[32:33], v[18:19], v[6:7]
	v_mul_f64_e32 v[6:7], v[16:17], v[6:7]
	s_wait_loadcnt_dscnt 0x101
	v_mul_f64_e32 v[34:35], v[22:23], v[10:11]
	v_mul_f64_e32 v[10:11], v[20:21], v[10:11]
	;; [unrolled: 3-line block ×3, first 2 shown]
	v_fma_f64 v[16:17], v[16:17], v[4:5], v[32:33]
	v_fma_f64 v[18:19], v[18:19], v[4:5], -v[6:7]
	v_fma_f64 v[20:21], v[20:21], v[8:9], v[34:35]
	v_fma_f64 v[8:9], v[22:23], v[8:9], -v[10:11]
	;; [unrolled: 2-line block ×3, first 2 shown]
	ds_load_b128 v[4:7], v45
	global_wb scope:SCOPE_SE
	s_wait_dscnt 0x0
	s_barrier_signal -1
	s_barrier_wait -1
	global_inv scope:SCOPE_SE
	v_add_f64_e64 v[20:21], v[4:5], -v[20:21]
	v_add_f64_e64 v[22:23], v[6:7], -v[8:9]
	;; [unrolled: 1-line block ×4, first 2 shown]
	s_delay_alu instid0(VALU_DEP_4) | instskip(NEXT) | instid1(VALU_DEP_4)
	v_fma_f64 v[4:5], v[4:5], 2.0, -v[20:21]
	v_fma_f64 v[6:7], v[6:7], 2.0, -v[22:23]
	s_delay_alu instid0(VALU_DEP_4) | instskip(NEXT) | instid1(VALU_DEP_4)
	v_fma_f64 v[12:13], v[16:17], 2.0, -v[8:9]
	v_fma_f64 v[14:15], v[18:19], 2.0, -v[10:11]
	v_add_f64_e32 v[16:17], v[20:21], v[10:11]
	v_add_f64_e64 v[18:19], v[22:23], -v[8:9]
	s_delay_alu instid0(VALU_DEP_4) | instskip(NEXT) | instid1(VALU_DEP_4)
	v_add_f64_e64 v[12:13], v[4:5], -v[12:13]
	v_add_f64_e64 v[14:15], v[6:7], -v[14:15]
	s_delay_alu instid0(VALU_DEP_4) | instskip(NEXT) | instid1(VALU_DEP_4)
	v_fma_f64 v[8:9], v[20:21], 2.0, -v[16:17]
	v_fma_f64 v[10:11], v[22:23], 2.0, -v[18:19]
	v_and_b32_e32 v20, 0xffff, v38
	v_lshlrev_b32_e32 v21, 4, v39
	s_delay_alu instid0(VALU_DEP_2) | instskip(NEXT) | instid1(VALU_DEP_1)
	v_mad_u32_u24 v20, 0x140, v20, 0
	v_add3_u32 v20, v20, v21, v48
	v_fma_f64 v[4:5], v[4:5], 2.0, -v[12:13]
	v_fma_f64 v[6:7], v[6:7], 2.0, -v[14:15]
	ds_store_b128 v20, v[12:15] offset:160
	ds_store_b128 v20, v[16:19] offset:240
	ds_store_b128 v20, v[4:7]
	ds_store_b128 v20, v[8:11] offset:80
	global_wb scope:SCOPE_SE
	s_wait_dscnt 0x0
	s_barrier_signal -1
	s_barrier_wait -1
	global_inv scope:SCOPE_SE
	s_and_saveexec_b32 s3, s2
	s_cbranch_execz .LBB0_8
; %bb.7:
	ds_load_b128 v[4:7], v45
	ds_load_b128 v[8:11], v47 offset:320
	ds_load_b128 v[12:15], v47 offset:640
	;; [unrolled: 1-line block ×4, first 2 shown]
.LBB0_8:
	s_wait_alu 0xfffe
	s_or_b32 exec_lo, exec_lo, s3
	global_wb scope:SCOPE_SE
	s_wait_dscnt 0x0
	s_barrier_signal -1
	s_barrier_wait -1
	global_inv scope:SCOPE_SE
	s_and_saveexec_b32 s3, s2
	s_cbranch_execz .LBB0_10
; %bb.9:
	v_dual_mov_b32 v21, 0 :: v_dual_lshlrev_b32 v20, 2, v24
	s_mov_b32 s11, 0xbfee6f0e
	s_mov_b32 s10, s8
	s_delay_alu instid0(VALU_DEP_1) | instskip(NEXT) | instid1(VALU_DEP_1)
	v_add_nc_u32_e32 v22, 0xffffffb0, v20
	v_cndmask_b32_e64 v20, v22, v20, s2
	s_delay_alu instid0(VALU_DEP_1) | instskip(NEXT) | instid1(VALU_DEP_1)
	v_lshlrev_b64_e32 v[20:21], 4, v[20:21]
	v_add_co_u32 v36, s2, s4, v20
	s_wait_alu 0xf1ff
	s_delay_alu instid0(VALU_DEP_2)
	v_add_co_ci_u32_e64 v37, s2, s5, v21, s2
	s_clause 0x3
	global_load_b128 v[20:23], v[36:37], off offset:256
	global_load_b128 v[28:31], v[36:37], off offset:240
	;; [unrolled: 1-line block ×4, first 2 shown]
	s_wait_loadcnt 0x3
	v_mul_f64_e32 v[40:41], v[12:13], v[22:23]
	s_wait_loadcnt 0x2
	v_mul_f64_e32 v[42:43], v[8:9], v[30:31]
	;; [unrolled: 2-line block ×4, first 2 shown]
	v_mul_f64_e32 v[22:23], v[14:15], v[22:23]
	v_mul_f64_e32 v[38:39], v[18:19], v[38:39]
	;; [unrolled: 1-line block ×4, first 2 shown]
	v_fma_f64 v[14:15], v[14:15], v[20:21], -v[40:41]
	v_fma_f64 v[10:11], v[10:11], v[28:29], -v[42:43]
	;; [unrolled: 1-line block ×4, first 2 shown]
	v_fma_f64 v[12:13], v[12:13], v[20:21], v[22:23]
	v_fma_f64 v[16:17], v[16:17], v[36:37], v[38:39]
	;; [unrolled: 1-line block ×4, first 2 shown]
	v_add_f64_e32 v[36:37], v[6:7], v[10:11]
	v_add_f64_e32 v[20:21], v[10:11], v[2:3]
	;; [unrolled: 1-line block ×3, first 2 shown]
	v_add_f64_e64 v[40:41], v[10:11], -v[2:3]
	v_add_f64_e32 v[28:29], v[12:13], v[16:17]
	v_add_f64_e32 v[38:39], v[4:5], v[8:9]
	;; [unrolled: 1-line block ×3, first 2 shown]
	v_add_f64_e64 v[32:33], v[12:13], -v[16:17]
	v_add_f64_e64 v[34:35], v[8:9], -v[0:1]
	;; [unrolled: 1-line block ×8, first 2 shown]
	v_fma_f64 v[20:21], v[20:21], -0.5, v[6:7]
	v_fma_f64 v[6:7], v[22:23], -0.5, v[6:7]
	v_add_f64_e64 v[22:23], v[14:15], -v[18:19]
	v_fma_f64 v[28:29], v[28:29], -0.5, v[4:5]
	v_add_f64_e32 v[12:13], v[38:39], v[12:13]
	v_fma_f64 v[4:5], v[30:31], -0.5, v[4:5]
	v_add_f64_e64 v[30:31], v[14:15], -v[10:11]
	v_add_f64_e64 v[10:11], v[10:11], -v[14:15]
	v_add_f64_e32 v[14:15], v[36:37], v[14:15]
	v_fma_f64 v[36:37], v[32:33], s[8:9], v[20:21]
	s_wait_alu 0xfffe
	v_fma_f64 v[20:21], v[32:33], s[10:11], v[20:21]
	v_fma_f64 v[38:39], v[34:35], s[10:11], v[6:7]
	;; [unrolled: 1-line block ×7, first 2 shown]
	s_mov_b32 s8, 0x4755a5e
	s_mov_b32 s9, 0xbfe2cf23
	;; [unrolled: 1-line block ×3, first 2 shown]
	s_wait_alu 0xfffe
	s_mov_b32 s10, s8
	v_add_f64_e32 v[30:31], v[30:31], v[42:43]
	v_add_f64_e32 v[42:43], v[10:11], v[48:49]
	;; [unrolled: 1-line block ×6, first 2 shown]
	v_fma_f64 v[12:13], v[34:35], s[8:9], v[36:37]
	s_wait_alu 0xfffe
	v_fma_f64 v[14:15], v[34:35], s[10:11], v[20:21]
	v_fma_f64 v[16:17], v[32:33], s[8:9], v[38:39]
	;; [unrolled: 1-line block ×7, first 2 shown]
	s_mov_b32 s8, 0x372fe950
	s_mov_b32 s9, 0x3fd3c6ef
	v_add_f64_e32 v[2:3], v[8:9], v[2:3]
	v_add_f64_e32 v[0:1], v[10:11], v[0:1]
	s_wait_alu 0xfffe
	v_fma_f64 v[6:7], v[30:31], s[8:9], v[12:13]
	v_fma_f64 v[10:11], v[30:31], s[8:9], v[14:15]
	;; [unrolled: 1-line block ×8, first 2 shown]
	ds_store_b128 v45, v[0:3]
	ds_store_b128 v47, v[16:19] offset:320
	ds_store_b128 v47, v[8:11] offset:640
	ds_store_b128 v47, v[4:7] offset:960
	ds_store_b128 v47, v[12:15] offset:1280
.LBB0_10:
	s_wait_alu 0xfffe
	s_or_b32 exec_lo, exec_lo, s3
	global_wb scope:SCOPE_SE
	s_wait_dscnt 0x0
	s_barrier_signal -1
	s_barrier_wait -1
	global_inv scope:SCOPE_SE
	ds_load_b128 v[4:7], v45
	v_sub_nc_u32_e32 v12, v44, v46
	v_cmp_ne_u16_e64 s2, 0, v25
                                        ; implicit-def: $vgpr0_vgpr1
                                        ; implicit-def: $vgpr8_vgpr9
                                        ; implicit-def: $vgpr10_vgpr11
	s_delay_alu instid0(VALU_DEP_1)
	s_and_saveexec_b32 s3, s2
	s_wait_alu 0xfffe
	s_xor_b32 s2, exec_lo, s3
	s_cbranch_execz .LBB0_12
; %bb.11:
	v_and_b32_e32 v0, 0xffff, v25
	s_delay_alu instid0(VALU_DEP_1)
	v_lshlrev_b32_e32 v0, 4, v0
	global_load_b128 v[13:16], v0, s[4:5] offset:1520
	ds_load_b128 v[0:3], v12 offset:1600
	s_wait_dscnt 0x0
	v_add_f64_e64 v[8:9], v[4:5], -v[0:1]
	v_add_f64_e32 v[10:11], v[6:7], v[2:3]
	v_add_f64_e64 v[2:3], v[6:7], -v[2:3]
	v_add_f64_e32 v[0:1], v[4:5], v[0:1]
	s_delay_alu instid0(VALU_DEP_4) | instskip(NEXT) | instid1(VALU_DEP_4)
	v_mul_f64_e32 v[6:7], 0.5, v[8:9]
	v_mul_f64_e32 v[4:5], 0.5, v[10:11]
	s_delay_alu instid0(VALU_DEP_4) | instskip(SKIP_1) | instid1(VALU_DEP_3)
	v_mul_f64_e32 v[2:3], 0.5, v[2:3]
	s_wait_loadcnt 0x0
	v_mul_f64_e32 v[8:9], v[6:7], v[15:16]
	s_delay_alu instid0(VALU_DEP_2) | instskip(SKIP_1) | instid1(VALU_DEP_3)
	v_fma_f64 v[10:11], v[4:5], v[15:16], v[2:3]
	v_fma_f64 v[2:3], v[4:5], v[15:16], -v[2:3]
	v_fma_f64 v[17:18], v[0:1], 0.5, v[8:9]
	v_fma_f64 v[0:1], v[0:1], 0.5, -v[8:9]
	s_delay_alu instid0(VALU_DEP_4) | instskip(NEXT) | instid1(VALU_DEP_4)
	v_fma_f64 v[10:11], -v[13:14], v[6:7], v[10:11]
	v_fma_f64 v[2:3], -v[13:14], v[6:7], v[2:3]
	s_delay_alu instid0(VALU_DEP_4) | instskip(NEXT) | instid1(VALU_DEP_4)
	v_fma_f64 v[8:9], v[4:5], v[13:14], v[17:18]
	v_fma_f64 v[0:1], -v[4:5], v[13:14], v[0:1]
                                        ; implicit-def: $vgpr4_vgpr5
.LBB0_12:
	s_wait_alu 0xfffe
	s_and_not1_saveexec_b32 s2, s2
	s_cbranch_execz .LBB0_14
; %bb.13:
	s_wait_dscnt 0x0
	v_add_f64_e32 v[8:9], v[4:5], v[6:7]
	v_add_f64_e64 v[0:1], v[4:5], -v[6:7]
	ds_load_b64 v[4:5], v44 offset:808
	v_mov_b32_e32 v10, 0
	v_mov_b32_e32 v11, 0
	s_delay_alu instid0(VALU_DEP_1)
	v_dual_mov_b32 v2, v10 :: v_dual_mov_b32 v3, v11
	s_wait_dscnt 0x0
	v_xor_b32_e32 v5, 0x80000000, v5
	ds_store_b64 v44, v[4:5] offset:808
.LBB0_14:
	s_wait_alu 0xfffe
	s_or_b32 exec_lo, exec_lo, s2
	v_mov_b32_e32 v25, 0
	s_add_nc_u64 s[2:3], s[4:5], 0x5f0
	s_wait_dscnt 0x0
	s_delay_alu instid0(VALU_DEP_1) | instskip(SKIP_1) | instid1(VALU_DEP_1)
	v_lshlrev_b64_e32 v[4:5], 4, v[24:25]
	s_wait_alu 0xfffe
	v_add_co_u32 v4, s2, s2, v4
	s_wait_alu 0xf1ff
	s_delay_alu instid0(VALU_DEP_2)
	v_add_co_ci_u32_e64 v5, s2, s3, v5, s2
	global_load_b128 v[4:7], v[4:5], off offset:400
	ds_store_2addr_b64 v45, v[8:9], v[10:11] offset1:1
	ds_store_b128 v12, v[0:3] offset:1600
	ds_load_b128 v[0:3], v45 offset:400
	ds_load_b128 v[8:11], v12 offset:1200
	s_wait_dscnt 0x0
	v_add_f64_e64 v[13:14], v[0:1], -v[8:9]
	v_add_f64_e32 v[15:16], v[2:3], v[10:11]
	v_add_f64_e64 v[2:3], v[2:3], -v[10:11]
	v_add_f64_e32 v[0:1], v[0:1], v[8:9]
	s_delay_alu instid0(VALU_DEP_4) | instskip(NEXT) | instid1(VALU_DEP_4)
	v_mul_f64_e32 v[10:11], 0.5, v[13:14]
	v_mul_f64_e32 v[13:14], 0.5, v[15:16]
	s_delay_alu instid0(VALU_DEP_4) | instskip(SKIP_1) | instid1(VALU_DEP_3)
	v_mul_f64_e32 v[2:3], 0.5, v[2:3]
	s_wait_loadcnt 0x0
	v_mul_f64_e32 v[8:9], v[10:11], v[6:7]
	s_delay_alu instid0(VALU_DEP_2) | instskip(SKIP_1) | instid1(VALU_DEP_3)
	v_fma_f64 v[15:16], v[13:14], v[6:7], v[2:3]
	v_fma_f64 v[2:3], v[13:14], v[6:7], -v[2:3]
	v_fma_f64 v[6:7], v[0:1], 0.5, v[8:9]
	v_fma_f64 v[0:1], v[0:1], 0.5, -v[8:9]
	s_delay_alu instid0(VALU_DEP_4) | instskip(NEXT) | instid1(VALU_DEP_4)
	v_fma_f64 v[8:9], -v[4:5], v[10:11], v[15:16]
	v_fma_f64 v[2:3], -v[4:5], v[10:11], v[2:3]
	s_delay_alu instid0(VALU_DEP_4) | instskip(NEXT) | instid1(VALU_DEP_4)
	v_fma_f64 v[6:7], v[13:14], v[4:5], v[6:7]
	v_fma_f64 v[0:1], -v[13:14], v[4:5], v[0:1]
	ds_store_2addr_b64 v45, v[6:7], v[8:9] offset0:50 offset1:51
	ds_store_b128 v12, v[0:3] offset:1200
	global_wb scope:SCOPE_SE
	s_wait_dscnt 0x0
	s_barrier_signal -1
	s_barrier_wait -1
	global_inv scope:SCOPE_SE
	s_and_saveexec_b32 s2, vcc_lo
	s_cbranch_execz .LBB0_17
; %bb.15:
	v_mad_co_u64_u32 v[0:1], null, s6, v26, 0
	s_load_b64 s[0:1], s[0:1], 0x58
	v_add_nc_u32_e32 v24, 25, v27
	v_mov_b32_e32 v28, v25
	s_delay_alu instid0(VALU_DEP_2) | instskip(NEXT) | instid1(VALU_DEP_4)
	v_lshlrev_b64_e32 v[21:22], 4, v[24:25]
	v_mad_co_u64_u32 v[1:2], null, s7, v26, v[1:2]
	v_lshl_add_u32 v2, v27, 4, v44
	v_add_nc_u32_e32 v24, 50, v27
	v_lshlrev_b64_e32 v[19:20], 4, v[27:28]
	ds_load_b128 v[3:6], v2
	ds_load_b128 v[7:10], v2 offset:400
	v_lshlrev_b64_e32 v[0:1], 4, v[0:1]
	ds_load_b128 v[11:14], v2 offset:800
	ds_load_b128 v[15:18], v2 offset:1200
	v_lshlrev_b64_e32 v[28:29], 4, v[24:25]
	v_add_nc_u32_e32 v24, 0x4b, v27
	s_wait_kmcnt 0x0
	v_add_co_u32 v0, vcc_lo, s0, v0
	v_add_co_ci_u32_e32 v1, vcc_lo, s1, v1, vcc_lo
	s_delay_alu instid0(VALU_DEP_3) | instskip(NEXT) | instid1(VALU_DEP_3)
	v_lshlrev_b64_e32 v[23:24], 4, v[24:25]
	v_add_co_u32 v19, vcc_lo, v0, v19
	s_wait_alu 0xfffd
	s_delay_alu instid0(VALU_DEP_3)
	v_add_co_ci_u32_e32 v20, vcc_lo, v1, v20, vcc_lo
	v_add_co_u32 v21, vcc_lo, v0, v21
	s_wait_alu 0xfffd
	v_add_co_ci_u32_e32 v22, vcc_lo, v1, v22, vcc_lo
	v_add_co_u32 v25, vcc_lo, v0, v28
	s_wait_alu 0xfffd
	;; [unrolled: 3-line block ×3, first 2 shown]
	v_add_co_ci_u32_e32 v24, vcc_lo, v1, v24, vcc_lo
	v_cmp_eq_u32_e32 vcc_lo, 24, v27
	s_wait_dscnt 0x3
	global_store_b128 v[19:20], v[3:6], off
	s_wait_dscnt 0x2
	global_store_b128 v[21:22], v[7:10], off
	;; [unrolled: 2-line block ×4, first 2 shown]
	s_and_b32 exec_lo, exec_lo, vcc_lo
	s_cbranch_execz .LBB0_17
; %bb.16:
	ds_load_b128 v[2:5], v2 offset:1216
	s_wait_dscnt 0x0
	global_store_b128 v[0:1], v[2:5], off offset:1600
.LBB0_17:
	s_nop 0
	s_sendmsg sendmsg(MSG_DEALLOC_VGPRS)
	s_endpgm
	.section	.rodata,"a",@progbits
	.p2align	6, 0x0
	.amdhsa_kernel fft_rtc_back_len100_factors_5_4_5_wgs_250_tpt_25_halfLds_dim1_dp_op_CI_CI_unitstride_sbrr_R2C_dirReg
		.amdhsa_group_segment_fixed_size 0
		.amdhsa_private_segment_fixed_size 0
		.amdhsa_kernarg_size 96
		.amdhsa_user_sgpr_count 2
		.amdhsa_user_sgpr_dispatch_ptr 0
		.amdhsa_user_sgpr_queue_ptr 0
		.amdhsa_user_sgpr_kernarg_segment_ptr 1
		.amdhsa_user_sgpr_dispatch_id 0
		.amdhsa_user_sgpr_private_segment_size 0
		.amdhsa_wavefront_size32 1
		.amdhsa_uses_dynamic_stack 0
		.amdhsa_enable_private_segment 0
		.amdhsa_system_sgpr_workgroup_id_x 1
		.amdhsa_system_sgpr_workgroup_id_y 0
		.amdhsa_system_sgpr_workgroup_id_z 0
		.amdhsa_system_sgpr_workgroup_info 0
		.amdhsa_system_vgpr_workitem_id 0
		.amdhsa_next_free_vgpr 66
		.amdhsa_next_free_sgpr 18
		.amdhsa_reserve_vcc 1
		.amdhsa_float_round_mode_32 0
		.amdhsa_float_round_mode_16_64 0
		.amdhsa_float_denorm_mode_32 3
		.amdhsa_float_denorm_mode_16_64 3
		.amdhsa_fp16_overflow 0
		.amdhsa_workgroup_processor_mode 1
		.amdhsa_memory_ordered 1
		.amdhsa_forward_progress 0
		.amdhsa_round_robin_scheduling 0
		.amdhsa_exception_fp_ieee_invalid_op 0
		.amdhsa_exception_fp_denorm_src 0
		.amdhsa_exception_fp_ieee_div_zero 0
		.amdhsa_exception_fp_ieee_overflow 0
		.amdhsa_exception_fp_ieee_underflow 0
		.amdhsa_exception_fp_ieee_inexact 0
		.amdhsa_exception_int_div_zero 0
	.end_amdhsa_kernel
	.text
.Lfunc_end0:
	.size	fft_rtc_back_len100_factors_5_4_5_wgs_250_tpt_25_halfLds_dim1_dp_op_CI_CI_unitstride_sbrr_R2C_dirReg, .Lfunc_end0-fft_rtc_back_len100_factors_5_4_5_wgs_250_tpt_25_halfLds_dim1_dp_op_CI_CI_unitstride_sbrr_R2C_dirReg
                                        ; -- End function
	.section	.AMDGPU.csdata,"",@progbits
; Kernel info:
; codeLenInByte = 3476
; NumSgprs: 20
; NumVgprs: 66
; ScratchSize: 0
; MemoryBound: 0
; FloatMode: 240
; IeeeMode: 1
; LDSByteSize: 0 bytes/workgroup (compile time only)
; SGPRBlocks: 2
; VGPRBlocks: 8
; NumSGPRsForWavesPerEU: 20
; NumVGPRsForWavesPerEU: 66
; Occupancy: 16
; WaveLimiterHint : 1
; COMPUTE_PGM_RSRC2:SCRATCH_EN: 0
; COMPUTE_PGM_RSRC2:USER_SGPR: 2
; COMPUTE_PGM_RSRC2:TRAP_HANDLER: 0
; COMPUTE_PGM_RSRC2:TGID_X_EN: 1
; COMPUTE_PGM_RSRC2:TGID_Y_EN: 0
; COMPUTE_PGM_RSRC2:TGID_Z_EN: 0
; COMPUTE_PGM_RSRC2:TIDIG_COMP_CNT: 0
	.text
	.p2alignl 7, 3214868480
	.fill 96, 4, 3214868480
	.type	__hip_cuid_7096f76a3bc72f6e,@object ; @__hip_cuid_7096f76a3bc72f6e
	.section	.bss,"aw",@nobits
	.globl	__hip_cuid_7096f76a3bc72f6e
__hip_cuid_7096f76a3bc72f6e:
	.byte	0                               ; 0x0
	.size	__hip_cuid_7096f76a3bc72f6e, 1

	.ident	"AMD clang version 19.0.0git (https://github.com/RadeonOpenCompute/llvm-project roc-6.4.0 25133 c7fe45cf4b819c5991fe208aaa96edf142730f1d)"
	.section	".note.GNU-stack","",@progbits
	.addrsig
	.addrsig_sym __hip_cuid_7096f76a3bc72f6e
	.amdgpu_metadata
---
amdhsa.kernels:
  - .args:
      - .actual_access:  read_only
        .address_space:  global
        .offset:         0
        .size:           8
        .value_kind:     global_buffer
      - .actual_access:  read_only
        .address_space:  global
        .offset:         8
        .size:           8
        .value_kind:     global_buffer
      - .actual_access:  read_only
        .address_space:  global
        .offset:         16
        .size:           8
        .value_kind:     global_buffer
      - .actual_access:  read_only
        .address_space:  global
        .offset:         24
        .size:           8
        .value_kind:     global_buffer
      - .offset:         32
        .size:           8
        .value_kind:     by_value
      - .actual_access:  read_only
        .address_space:  global
        .offset:         40
        .size:           8
        .value_kind:     global_buffer
      - .actual_access:  read_only
        .address_space:  global
        .offset:         48
        .size:           8
        .value_kind:     global_buffer
      - .offset:         56
        .size:           4
        .value_kind:     by_value
      - .actual_access:  read_only
        .address_space:  global
        .offset:         64
        .size:           8
        .value_kind:     global_buffer
      - .actual_access:  read_only
        .address_space:  global
        .offset:         72
        .size:           8
        .value_kind:     global_buffer
      - .actual_access:  read_only
        .address_space:  global
        .offset:         80
        .size:           8
        .value_kind:     global_buffer
      - .actual_access:  write_only
        .address_space:  global
        .offset:         88
        .size:           8
        .value_kind:     global_buffer
    .group_segment_fixed_size: 0
    .kernarg_segment_align: 8
    .kernarg_segment_size: 96
    .language:       OpenCL C
    .language_version:
      - 2
      - 0
    .max_flat_workgroup_size: 250
    .name:           fft_rtc_back_len100_factors_5_4_5_wgs_250_tpt_25_halfLds_dim1_dp_op_CI_CI_unitstride_sbrr_R2C_dirReg
    .private_segment_fixed_size: 0
    .sgpr_count:     20
    .sgpr_spill_count: 0
    .symbol:         fft_rtc_back_len100_factors_5_4_5_wgs_250_tpt_25_halfLds_dim1_dp_op_CI_CI_unitstride_sbrr_R2C_dirReg.kd
    .uniform_work_group_size: 1
    .uses_dynamic_stack: false
    .vgpr_count:     66
    .vgpr_spill_count: 0
    .wavefront_size: 32
    .workgroup_processor_mode: 1
amdhsa.target:   amdgcn-amd-amdhsa--gfx1201
amdhsa.version:
  - 1
  - 2
...

	.end_amdgpu_metadata
